;; amdgpu-corpus repo=ROCm/rocFFT kind=compiled arch=gfx1030 opt=O3
	.text
	.amdgcn_target "amdgcn-amd-amdhsa--gfx1030"
	.amdhsa_code_object_version 6
	.protected	bluestein_single_back_len1792_dim1_sp_op_CI_CI ; -- Begin function bluestein_single_back_len1792_dim1_sp_op_CI_CI
	.globl	bluestein_single_back_len1792_dim1_sp_op_CI_CI
	.p2align	8
	.type	bluestein_single_back_len1792_dim1_sp_op_CI_CI,@function
bluestein_single_back_len1792_dim1_sp_op_CI_CI: ; @bluestein_single_back_len1792_dim1_sp_op_CI_CI
; %bb.0:
	s_load_dwordx4 s[16:19], s[4:5], 0x28
	v_mul_u32_u24_e32 v1, 0x125, v0
	v_mov_b32_e32 v65, 0
	s_mov_b32 s0, exec_lo
	v_lshrrev_b32_e32 v1, 16, v1
	v_add_nc_u32_e32 v64, s6, v1
	s_waitcnt lgkmcnt(0)
	v_cmpx_gt_u64_e64 s[16:17], v[64:65]
	s_cbranch_execz .LBB0_10
; %bb.1:
	s_clause 0x1
	s_load_dwordx4 s[0:3], s[4:5], 0x18
	s_load_dwordx4 s[12:15], s[4:5], 0x0
	v_mul_lo_u16 v1, 0xe0, v1
                                        ; implicit-def: $vgpr89
                                        ; implicit-def: $vgpr58
                                        ; implicit-def: $vgpr50
	v_sub_nc_u16 v8, v0, v1
	v_and_b32_e32 v93, 0xffff, v8
	v_lshlrev_b32_e32 v94, 3, v93
	v_and_b32_e32 v27, 3, v93
	v_lshlrev_b32_e32 v96, 5, v93
	s_waitcnt lgkmcnt(0)
	s_load_dwordx4 s[8:11], s[0:1], 0x0
	s_clause 0x1
	global_load_dwordx2 v[65:66], v94, s[12:13]
	global_load_dwordx2 v[67:68], v94, s[12:13] offset:1792
	v_add_co_u32 v19, s0, s12, v94
	v_add_co_ci_u32_e64 v20, null, s13, 0, s0
	s_waitcnt lgkmcnt(0)
	v_mad_u64_u32 v[0:1], null, s10, v64, 0
	v_mad_u64_u32 v[2:3], null, s8, v93, 0
	s_mul_i32 s0, s9, 0xe00
	s_mul_hi_u32 s1, s8, 0xe00
	s_mul_i32 s6, s8, 0xe00
	s_add_i32 s1, s1, s0
	s_mul_i32 s0, s9, 0xffffdd00
	v_mad_u64_u32 v[4:5], null, s11, v64, v[1:2]
	s_sub_i32 s0, s0, s8
	v_mad_u64_u32 v[5:6], null, s9, v93, v[3:4]
	v_mov_b32_e32 v1, v4
	v_add_co_u32 v6, vcc_lo, 0x800, v19
	v_add_co_ci_u32_e32 v7, vcc_lo, 0, v20, vcc_lo
	v_add_co_u32 v9, vcc_lo, 0x1800, v19
	v_mov_b32_e32 v3, v5
	v_lshlrev_b64 v[0:1], 3, v[0:1]
	v_add_co_ci_u32_e32 v10, vcc_lo, 0, v20, vcc_lo
	v_add_co_u32 v4, vcc_lo, 0x2800, v19
	v_add_co_ci_u32_e32 v5, vcc_lo, 0, v20, vcc_lo
	v_lshlrev_b64 v[2:3], 3, v[2:3]
	v_add_co_u32 v0, vcc_lo, s18, v0
	v_add_co_ci_u32_e32 v1, vcc_lo, s19, v1, vcc_lo
	s_clause 0x1
	global_load_dwordx2 v[79:80], v[6:7], off offset:1536
	global_load_dwordx2 v[77:78], v[9:10], off offset:1024
	v_add_co_u32 v0, vcc_lo, v0, v2
	v_add_co_ci_u32_e32 v1, vcc_lo, v1, v3, vcc_lo
	v_add_co_u32 v2, vcc_lo, v0, s6
	v_add_co_ci_u32_e32 v3, vcc_lo, s1, v1, vcc_lo
	;; [unrolled: 2-line block ×7, first 2 shown]
	v_mad_u64_u32 v[6:7], null, 0xffffdd00, s8, v[17:18]
	s_clause 0x1
	global_load_dwordx2 v[0:1], v[0:1], off
	global_load_dwordx2 v[2:3], v[2:3], off
	s_clause 0x1
	global_load_dwordx2 v[75:76], v[4:5], off offset:512
	global_load_dwordx2 v[69:70], v[11:12], off offset:1280
	s_clause 0x1
	global_load_dwordx2 v[4:5], v[13:14], off
	global_load_dwordx2 v[13:14], v[17:18], off
	v_add_nc_u32_e32 v7, s0, v7
	v_add_co_u32 v9, vcc_lo, v6, s6
	v_add_co_ci_u32_e32 v10, vcc_lo, s1, v7, vcc_lo
	v_add_co_u32 v11, vcc_lo, v9, s6
	global_load_dwordx2 v[6:7], v[6:7], off
	v_add_co_ci_u32_e32 v12, vcc_lo, s1, v10, vcc_lo
	global_load_dwordx2 v[17:18], v[9:10], off
	v_add_co_u32 v9, vcc_lo, v11, s6
	v_add_co_ci_u32_e32 v10, vcc_lo, s1, v12, vcc_lo
	global_load_dwordx2 v[71:72], v[15:16], off offset:768
	global_load_dwordx2 v[15:16], v[11:12], off
	global_load_dwordx2 v[73:74], v[19:20], off offset:256
	global_load_dwordx2 v[19:20], v[9:10], off
	v_add_nc_u32_e32 v11, 0x1c00, v94
	v_add_nc_u32_e32 v10, 0xe00, v94
	;; [unrolled: 1-line block ×3, first 2 shown]
	s_load_dwordx4 s[8:11], s[2:3], 0x0
	s_load_dwordx2 s[2:3], s[4:5], 0x38
	v_cmp_gt_u16_e32 vcc_lo, 32, v8
	s_waitcnt vmcnt(11)
	v_mul_f32_e32 v21, v1, v66
	s_waitcnt vmcnt(10)
	v_mul_f32_e32 v23, v3, v80
	v_mul_f32_e32 v9, v2, v80
	;; [unrolled: 1-line block ×3, first 2 shown]
	s_waitcnt vmcnt(7)
	v_mul_f32_e32 v25, v5, v78
	v_mul_f32_e32 v26, v4, v78
	v_fmac_f32_e32 v23, v2, v79
	v_fma_f32 v24, v3, v79, -v9
	v_fmac_f32_e32 v21, v0, v65
	s_waitcnt vmcnt(6)
	v_mul_f32_e32 v0, v14, v76
	v_fma_f32 v22, v1, v65, -v22
	v_mul_f32_e32 v1, v13, v76
	v_fmac_f32_e32 v25, v4, v77
	v_fma_f32 v26, v5, v77, -v26
	v_fmac_f32_e32 v0, v13, v75
	ds_write_b64 v94, v[23:24] offset:3584
	v_fma_f32 v1, v14, v75, -v1
	s_waitcnt vmcnt(5)
	v_mul_f32_e32 v2, v7, v68
	v_mul_f32_e32 v3, v6, v68
	ds_write_b64 v94, v[25:26] offset:7168
	s_waitcnt vmcnt(4)
	v_mul_f32_e32 v4, v18, v70
	v_mul_f32_e32 v5, v17, v70
	v_fmac_f32_e32 v2, v6, v67
	v_fma_f32 v3, v7, v67, -v3
	s_waitcnt vmcnt(2)
	v_mul_f32_e32 v6, v16, v72
	v_mul_f32_e32 v7, v15, v72
	s_waitcnt vmcnt(0)
	v_mul_f32_e32 v13, v20, v74
	v_mul_f32_e32 v9, v19, v74
	v_fmac_f32_e32 v4, v17, v69
	v_fma_f32 v5, v18, v69, -v5
	v_fmac_f32_e32 v6, v15, v71
	v_fma_f32 v7, v16, v71, -v7
	;; [unrolled: 2-line block ×3, first 2 shown]
	ds_write_b64 v94, v[0:1] offset:10752
	ds_write2_b64 v94, v[21:22], v[2:3] offset1:224
	ds_write_b64 v94, v[4:5] offset:5376
	ds_write_b64 v94, v[6:7] offset:8960
	;; [unrolled: 1-line block ×3, first 2 shown]
	s_waitcnt lgkmcnt(0)
	s_barrier
	buffer_gl0_inv
	ds_read2_b64 v[0:3], v94 offset1:224
	ds_read2_b64 v[4:7], v11 offset1:224
	;; [unrolled: 1-line block ×4, first 2 shown]
	v_add_co_u32 v9, null, 0xe0, v93
	v_mad_u64_u32 v[25:26], null, v27, 24, s[14:15]
	s_waitcnt lgkmcnt(0)
	v_lshlrev_b32_e32 v95, 5, v9
	s_barrier
	buffer_gl0_inv
	v_lshlrev_b32_e32 v36, 2, v9
	v_sub_f32_e32 v21, v0, v4
	v_sub_f32_e32 v22, v1, v5
	;; [unrolled: 1-line block ×8, first 2 shown]
	v_fma_f32 v0, v0, 2.0, -v21
	v_fma_f32 v1, v1, 2.0, -v22
	;; [unrolled: 1-line block ×8, first 2 shown]
	v_sub_f32_e32 v4, v21, v4
	v_add_f32_e32 v5, v22, v5
	v_sub_f32_e32 v2, v0, v13
	v_sub_f32_e32 v3, v1, v14
	v_sub_f32_e32 v15, v6, v18
	v_add_f32_e32 v16, v7, v17
	v_sub_f32_e32 v13, v28, v23
	v_sub_f32_e32 v14, v29, v24
	v_fma_f32 v19, v21, 2.0, -v4
	v_fma_f32 v20, v22, 2.0, -v5
	;; [unrolled: 1-line block ×8, first 2 shown]
	ds_write_b128 v96, v[2:5] offset:16
	ds_write_b128 v96, v[17:20]
	ds_write_b128 v95, v[21:24]
	ds_write_b128 v95, v[13:16] offset:16
	s_waitcnt lgkmcnt(0)
	s_barrier
	buffer_gl0_inv
	s_clause 0x1
	global_load_dwordx4 v[0:3], v[25:26], off
	global_load_dwordx2 v[81:82], v[25:26], off offset:16
	ds_read2_b64 v[4:7], v10 offset1:224
	ds_read2_b64 v[14:17], v11 offset1:224
	v_lshlrev_b32_e32 v13, 2, v93
	ds_read2_b64 v[18:21], v12 offset1:224
	v_and_or_b32 v23, 0x7f0, v36, v27
	v_and_b32_e32 v28, 15, v93
	v_and_or_b32 v22, 0x3f0, v13, v27
	v_lshlrev_b32_e32 v98, 3, v23
	v_mad_u64_u32 v[26:27], null, v28, 24, s[14:15]
	v_lshlrev_b32_e32 v97, 3, v22
	ds_read2_b64 v[22:25], v94 offset1:224
	s_waitcnt vmcnt(0) lgkmcnt(0)
	s_barrier
	buffer_gl0_inv
	v_mul_f32_e32 v29, v5, v1
	v_mul_f32_e32 v30, v4, v1
	;; [unrolled: 1-line block ×12, first 2 shown]
	v_fma_f32 v4, v4, v0, -v29
	v_fmac_f32_e32 v30, v5, v0
	v_fma_f32 v5, v14, v2, -v33
	v_fmac_f32_e32 v34, v15, v2
	;; [unrolled: 2-line block ×6, first 2 shown]
	v_sub_f32_e32 v16, v22, v5
	v_sub_f32_e32 v17, v23, v34
	;; [unrolled: 1-line block ×8, first 2 shown]
	v_fma_f32 v22, v22, 2.0, -v16
	v_fma_f32 v23, v23, 2.0, -v17
	;; [unrolled: 1-line block ×8, first 2 shown]
	v_sub_f32_e32 v4, v16, v14
	v_add_f32_e32 v5, v17, v5
	v_sub_f32_e32 v6, v20, v15
	v_sub_f32_e32 v14, v22, v18
	;; [unrolled: 1-line block ×3, first 2 shown]
	v_add_f32_e32 v7, v21, v7
	v_sub_f32_e32 v18, v24, v29
	v_sub_f32_e32 v19, v25, v30
	v_fma_f32 v16, v16, 2.0, -v4
	v_fma_f32 v17, v17, 2.0, -v5
	;; [unrolled: 1-line block ×8, first 2 shown]
	ds_write2_b64 v97, v[14:15], v[4:5] offset0:8 offset1:12
	ds_write2_b64 v97, v[22:23], v[16:17] offset1:4
	ds_write2_b64 v98, v[24:25], v[20:21] offset1:4
	ds_write2_b64 v98, v[18:19], v[6:7] offset0:8 offset1:12
	s_waitcnt lgkmcnt(0)
	s_barrier
	buffer_gl0_inv
	s_clause 0x1
	global_load_dwordx4 v[4:7], v[26:27], off offset:96
	global_load_dwordx2 v[83:84], v[26:27], off offset:112
	ds_read2_b64 v[14:17], v10 offset1:224
	ds_read2_b64 v[18:21], v11 offset1:224
	;; [unrolled: 1-line block ×3, first 2 shown]
	v_and_or_b32 v26, 0x3c0, v13, v28
	v_and_or_b32 v27, 0x7c0, v36, v28
	v_and_b32_e32 v37, 63, v93
	v_and_b32_e32 v38, 63, v9
	v_lshlrev_b32_e32 v100, 3, v26
	v_lshlrev_b32_e32 v99, 3, v27
	ds_read2_b64 v[26:29], v94 offset1:224
	v_mad_u64_u32 v[30:31], null, v37, 24, s[14:15]
	v_mad_u64_u32 v[32:33], null, v38, 24, s[14:15]
	s_waitcnt vmcnt(0) lgkmcnt(0)
	s_barrier
	buffer_gl0_inv
	v_mul_f32_e32 v34, v15, v5
	v_mul_f32_e32 v35, v14, v5
	;; [unrolled: 1-line block ×12, first 2 shown]
	v_fma_f32 v14, v14, v4, -v34
	v_fmac_f32_e32 v35, v15, v4
	v_fmac_f32_e32 v40, v17, v4
	v_fma_f32 v15, v18, v6, -v41
	v_fmac_f32_e32 v42, v19, v6
	v_fma_f32 v17, v20, v6, -v43
	v_fma_f32 v18, v22, v83, -v45
	v_fmac_f32_e32 v46, v23, v83
	v_fma_f32 v16, v16, v4, -v39
	v_fmac_f32_e32 v44, v21, v6
	;; [unrolled: 2-line block ×3, first 2 shown]
	v_sub_f32_e32 v20, v26, v15
	v_sub_f32_e32 v21, v27, v42
	;; [unrolled: 1-line block ×8, first 2 shown]
	v_fma_f32 v26, v26, 2.0, -v20
	v_fma_f32 v27, v27, 2.0, -v21
	;; [unrolled: 1-line block ×8, first 2 shown]
	v_sub_f32_e32 v14, v20, v17
	v_add_f32_e32 v15, v21, v15
	v_sub_f32_e32 v16, v24, v19
	v_add_f32_e32 v17, v25, v18
	v_sub_f32_e32 v18, v26, v22
	v_sub_f32_e32 v19, v27, v23
	;; [unrolled: 1-line block ×4, first 2 shown]
	v_fma_f32 v20, v20, 2.0, -v14
	v_fma_f32 v21, v21, 2.0, -v15
	;; [unrolled: 1-line block ×8, first 2 shown]
	ds_write2_b64 v100, v[18:19], v[14:15] offset0:32 offset1:48
	ds_write2_b64 v100, v[26:27], v[20:21] offset1:16
	ds_write2_b64 v99, v[28:29], v[24:25] offset1:16
	ds_write2_b64 v99, v[22:23], v[16:17] offset0:32 offset1:48
	s_waitcnt lgkmcnt(0)
	s_barrier
	buffer_gl0_inv
	s_clause 0x3
	global_load_dwordx4 v[16:19], v[30:31], off offset:480
	global_load_dwordx4 v[20:23], v[32:33], off offset:480
	global_load_dwordx2 v[87:88], v[30:31], off offset:496
	global_load_dwordx2 v[85:86], v[32:33], off offset:496
	ds_read2_b64 v[24:27], v10 offset1:224
	ds_read2_b64 v[28:31], v11 offset1:224
	;; [unrolled: 1-line block ×3, first 2 shown]
	v_and_or_b32 v10, 0x300, v13, v37
	v_and_or_b32 v11, 0x700, v36, v38
	v_lshlrev_b32_e32 v102, 3, v10
	v_lshlrev_b32_e32 v101, 3, v11
	ds_read2_b64 v[10:13], v94 offset1:224
	s_waitcnt vmcnt(0) lgkmcnt(0)
	s_barrier
	buffer_gl0_inv
	v_mul_f32_e32 v14, v25, v17
	v_mul_f32_e32 v15, v24, v17
	;; [unrolled: 1-line block ×12, first 2 shown]
	v_fma_f32 v14, v24, v16, -v14
	v_fmac_f32_e32 v15, v25, v16
	v_fmac_f32_e32 v37, v27, v20
	v_fma_f32 v25, v28, v18, -v38
	v_fmac_f32_e32 v39, v29, v18
	v_fma_f32 v27, v32, v87, -v42
	;; [unrolled: 2-line block ×3, first 2 shown]
	v_fma_f32 v26, v30, v22, -v40
	v_fmac_f32_e32 v41, v31, v22
	v_fma_f32 v28, v34, v85, -v44
	v_fmac_f32_e32 v45, v35, v85
	v_sub_f32_e32 v27, v14, v27
	v_sub_f32_e32 v29, v15, v43
	;; [unrolled: 1-line block ×8, first 2 shown]
	v_fma_f32 v33, v14, 2.0, -v27
	v_fma_f32 v34, v15, 2.0, -v29
	v_sub_f32_e32 v14, v25, v29
	v_fma_f32 v29, v10, 2.0, -v25
	v_fma_f32 v35, v11, 2.0, -v30
	v_add_f32_e32 v15, v30, v27
	v_fma_f32 v36, v12, 2.0, -v26
	v_fma_f32 v38, v13, 2.0, -v31
	;; [unrolled: 1-line block ×4, first 2 shown]
	v_sub_f32_e32 v10, v29, v33
	v_sub_f32_e32 v11, v35, v34
	;; [unrolled: 1-line block ×3, first 2 shown]
	v_add_f32_e32 v41, v31, v28
	v_fma_f32 v12, v25, 2.0, -v14
	v_sub_f32_e32 v24, v36, v24
	v_sub_f32_e32 v25, v38, v27
	v_fma_f32 v13, v30, 2.0, -v15
	v_fma_f32 v28, v29, 2.0, -v10
	;; [unrolled: 1-line block ×7, first 2 shown]
	ds_write2st64_b64 v102, v[10:11], v[14:15] offset0:2 offset1:3
	ds_write2st64_b64 v102, v[28:29], v[12:13] offset1:1
	ds_write2st64_b64 v101, v[30:31], v[26:27] offset1:1
	ds_write2st64_b64 v101, v[24:25], v[40:41] offset0:2 offset1:3
	s_waitcnt lgkmcnt(0)
	s_barrier
	buffer_gl0_inv
	ds_read_b64 v[91:92], v94 offset:12288
	ds_read2st64_b64 v[44:47], v94 offset1:4
	ds_read2st64_b64 v[60:63], v94 offset0:8 offset1:12
	ds_read2st64_b64 v[52:55], v94 offset0:16 offset1:20
	s_and_saveexec_b32 s0, vcc_lo
	s_cbranch_execz .LBB0_3
; %bb.2:
	v_add_nc_u32_e32 v8, 0x100, v94
	ds_read2st64_b64 v[40:43], v8 offset0:3 offset1:7
	ds_read2st64_b64 v[56:59], v8 offset0:11 offset1:15
	;; [unrolled: 1-line block ×3, first 2 shown]
	ds_read_b64 v[89:90], v94 offset:14080
.LBB0_3:
	s_or_b32 exec_lo, exec_lo, s0
	v_mad_u64_u32 v[12:13], null, v93, 48, s[14:15]
	v_and_b32_e32 v8, 0xff, v9
	v_mad_u64_u32 v[24:25], null, v8, 48, s[14:15]
	v_add_co_u32 v26, s0, 0x7e0, v12
	v_add_co_ci_u32_e64 v27, s0, 0, v13, s0
	s_clause 0x4
	global_load_dwordx4 v[28:31], v[12:13], off offset:2016
	global_load_dwordx4 v[32:35], v[12:13], off offset:2032
	;; [unrolled: 1-line block ×5, first 2 shown]
	v_add_co_u32 v24, s0, 0x7e0, v24
	v_add_co_ci_u32_e64 v25, s0, 0, v25, s0
	global_load_dwordx4 v[24:27], v[24:25], off offset:32
	s_waitcnt vmcnt(5) lgkmcnt(2)
	v_mul_f32_e32 v104, v46, v29
	s_waitcnt lgkmcnt(1)
	v_mul_f32_e32 v105, v61, v31
	v_mul_f32_e32 v106, v60, v31
	s_waitcnt vmcnt(4)
	v_mul_f32_e32 v107, v63, v33
	s_waitcnt lgkmcnt(0)
	v_mul_f32_e32 v109, v53, v35
	v_mul_f32_e32 v110, v52, v35
	;; [unrolled: 1-line block ×4, first 2 shown]
	v_fmac_f32_e32 v104, v47, v28
	v_fma_f32 v47, v60, v30, -v105
	v_fmac_f32_e32 v106, v61, v30
	v_fma_f32 v60, v62, v32, -v107
	v_fma_f32 v52, v52, v34, -v109
	v_fmac_f32_e32 v110, v53, v34
	s_waitcnt vmcnt(3)
	v_mul_f32_e32 v53, v43, v9
	v_mul_f32_e32 v61, v42, v9
	;; [unrolled: 1-line block ×3, first 2 shown]
	s_waitcnt vmcnt(2)
	v_mul_f32_e32 v105, v58, v13
	v_mul_f32_e32 v109, v48, v15
	s_waitcnt vmcnt(1)
	v_mul_f32_e32 v111, v55, v37
	v_mul_f32_e32 v112, v54, v37
	;; [unrolled: 1-line block ×4, first 2 shown]
	v_fma_f32 v46, v46, v28, -v103
	v_fmac_f32_e32 v108, v63, v32
	v_mul_f32_e32 v63, v56, v11
	v_mul_f32_e32 v103, v59, v13
	;; [unrolled: 1-line block ×3, first 2 shown]
	v_fma_f32 v42, v42, v8, -v53
	v_fmac_f32_e32 v61, v43, v8
	v_fma_f32 v43, v56, v10, -v62
	v_add_f32_e32 v53, v60, v52
	v_sub_f32_e32 v52, v52, v60
	v_fmac_f32_e32 v105, v59, v12
	v_fmac_f32_e32 v109, v49, v14
	v_fma_f32 v49, v54, v36, -v111
	v_fmac_f32_e32 v112, v55, v36
	v_fma_f32 v54, v91, v38, -v113
	v_fmac_f32_e32 v114, v92, v38
	s_waitcnt vmcnt(0)
	v_mul_f32_e32 v55, v51, v25
	v_mul_f32_e32 v59, v50, v25
	;; [unrolled: 1-line block ×4, first 2 shown]
	v_fmac_f32_e32 v63, v57, v10
	v_add_f32_e32 v56, v108, v110
	v_sub_f32_e32 v57, v110, v108
	v_fma_f32 v58, v58, v12, -v103
	v_fma_f32 v48, v48, v14, -v107
	;; [unrolled: 1-line block ×3, first 2 shown]
	v_fmac_f32_e32 v59, v51, v24
	v_fma_f32 v51, v89, v26, -v60
	v_fmac_f32_e32 v62, v90, v26
	v_add_f32_e32 v55, v46, v54
	v_add_f32_e32 v60, v104, v114
	v_sub_f32_e32 v46, v46, v54
	v_add_f32_e32 v54, v47, v49
	v_add_f32_e32 v89, v106, v112
	v_sub_f32_e32 v90, v104, v114
	v_sub_f32_e32 v47, v47, v49
	;; [unrolled: 1-line block ×3, first 2 shown]
	v_add_f32_e32 v91, v58, v48
	v_add_f32_e32 v92, v105, v109
	v_sub_f32_e32 v48, v48, v58
	v_sub_f32_e32 v58, v109, v105
	v_add_f32_e32 v103, v54, v55
	v_add_f32_e32 v104, v89, v60
	v_sub_f32_e32 v105, v54, v55
	v_sub_f32_e32 v106, v89, v60
	;; [unrolled: 1-line block ×6, first 2 shown]
	v_add_f32_e32 v108, v57, v49
	v_sub_f32_e32 v109, v52, v47
	v_sub_f32_e32 v110, v57, v49
	;; [unrolled: 1-line block ×3, first 2 shown]
	v_add_f32_e32 v111, v42, v51
	v_add_f32_e32 v112, v61, v62
	v_sub_f32_e32 v42, v42, v51
	v_sub_f32_e32 v51, v61, v62
	v_add_f32_e32 v61, v43, v50
	v_add_f32_e32 v62, v63, v59
	;; [unrolled: 1-line block ×3, first 2 shown]
	v_sub_f32_e32 v52, v46, v52
	v_sub_f32_e32 v57, v90, v57
	;; [unrolled: 1-line block ×5, first 2 shown]
	v_add_f32_e32 v53, v53, v103
	v_add_f32_e32 v56, v56, v104
	;; [unrolled: 1-line block ×3, first 2 shown]
	v_mul_f32_e32 v63, 0x3f4a47b2, v55
	v_mul_f32_e32 v60, 0x3f4a47b2, v60
	;; [unrolled: 1-line block ×7, first 2 shown]
	v_add_f32_e32 v113, v61, v111
	v_add_f32_e32 v114, v62, v112
	;; [unrolled: 1-line block ×3, first 2 shown]
	v_mul_f32_e32 v109, 0x3f5ff5aa, v47
	v_sub_f32_e32 v115, v61, v111
	v_sub_f32_e32 v116, v62, v112
	;; [unrolled: 1-line block ×6, first 2 shown]
	v_add_f32_e32 v117, v48, v43
	v_add_f32_e32 v118, v58, v50
	v_sub_f32_e32 v119, v48, v43
	v_sub_f32_e32 v120, v58, v50
	;; [unrolled: 1-line block ×4, first 2 shown]
	v_add_f32_e32 v54, v44, v53
	v_add_f32_e32 v55, v45, v56
	v_fmamk_f32 v44, v107, 0x3d64c772, v63
	v_fmamk_f32 v45, v89, 0x3d64c772, v60
	v_fma_f32 v89, 0x3f3bfb3b, v105, -v90
	v_fma_f32 v90, 0x3f3bfb3b, v106, -v103
	v_fma_f32 v63, 0xbf3bfb3b, v105, -v63
	v_fmamk_f32 v103, v52, 0x3eae86e6, v104
	v_fmamk_f32 v105, v57, 0x3eae86e6, v108
	v_fma_f32 v47, 0x3f5ff5aa, v47, -v104
	v_fma_f32 v104, 0xbeae86e6, v57, -v110
	v_add_f32_e32 v57, v91, v113
	v_add_f32_e32 v91, v92, v114
	v_sub_f32_e32 v48, v42, v48
	v_sub_f32_e32 v58, v51, v58
	v_fma_f32 v60, 0xbf3bfb3b, v106, -v60
	v_fma_f32 v49, 0x3f5ff5aa, v49, -v108
	;; [unrolled: 1-line block ×3, first 2 shown]
	v_mul_f32_e32 v92, 0x3f4a47b2, v111
	v_mul_f32_e32 v106, 0x3f4a47b2, v112
	;; [unrolled: 1-line block ×8, first 2 shown]
	v_fmamk_f32 v53, v53, 0xbf955555, v54
	v_fmamk_f32 v56, v56, 0xbf955555, v55
	v_add_f32_e32 v40, v40, v57
	v_add_f32_e32 v41, v41, v91
	;; [unrolled: 1-line block ×4, first 2 shown]
	v_fmac_f32_e32 v103, 0x3ee1c552, v46
	v_fmac_f32_e32 v47, 0x3ee1c552, v46
	;; [unrolled: 1-line block ×5, first 2 shown]
	v_fmamk_f32 v46, v61, 0x3d64c772, v92
	v_fmamk_f32 v113, v62, 0x3d64c772, v106
	v_fma_f32 v107, 0x3f3bfb3b, v115, -v107
	v_fma_f32 v108, 0x3f3bfb3b, v116, -v108
	;; [unrolled: 1-line block ×4, first 2 shown]
	v_fmamk_f32 v115, v48, 0x3eae86e6, v109
	v_fmamk_f32 v116, v58, 0x3eae86e6, v110
	v_fma_f32 v109, 0x3f5ff5aa, v43, -v109
	v_fma_f32 v50, 0x3f5ff5aa, v50, -v110
	v_fma_f32 v110, 0xbeae86e6, v48, -v111
	v_fma_f32 v111, 0xbeae86e6, v58, -v112
	v_add_f32_e32 v43, v44, v53
	v_add_f32_e32 v44, v45, v56
	;; [unrolled: 1-line block ×6, first 2 shown]
	v_fmamk_f32 v112, v57, 0xbf955555, v40
	v_fmamk_f32 v117, v91, 0xbf955555, v41
	v_fmac_f32_e32 v105, 0x3ee1c552, v59
	v_fmac_f32_e32 v115, 0x3ee1c552, v42
	;; [unrolled: 1-line block ×7, first 2 shown]
	v_sub_f32_e32 v57, v44, v103
	v_add_f32_e32 v58, v104, v53
	v_sub_f32_e32 v59, v90, v52
	v_sub_f32_e32 v60, v45, v49
	v_add_f32_e32 v61, v47, v48
	v_add_f32_e32 v62, v49, v45
	v_sub_f32_e32 v63, v48, v47
	v_sub_f32_e32 v89, v53, v104
	v_add_f32_e32 v90, v52, v90
	v_add_f32_e32 v92, v103, v44
	;; [unrolled: 1-line block ×9, first 2 shown]
	v_sub_f32_e32 v91, v43, v105
	v_add_f32_e32 v42, v116, v52
	v_sub_f32_e32 v43, v53, v115
	v_add_f32_e32 v44, v111, v51
	v_sub_f32_e32 v45, v103, v110
	v_sub_f32_e32 v46, v48, v50
	v_add_f32_e32 v47, v109, v49
	v_add_f32_e32 v48, v50, v48
	v_sub_f32_e32 v49, v49, v109
	v_sub_f32_e32 v50, v51, v111
	v_add_f32_e32 v51, v110, v103
	v_sub_f32_e32 v52, v52, v116
	v_add_f32_e32 v53, v115, v53
	ds_write2st64_b64 v94, v[54:55], v[56:57] offset1:4
	ds_write2st64_b64 v94, v[58:59], v[60:61] offset0:8 offset1:12
	ds_write2st64_b64 v94, v[62:63], v[89:90] offset0:16 offset1:20
	ds_write_b64 v94, v[91:92] offset:12288
	s_and_saveexec_b32 s0, vcc_lo
	s_cbranch_execz .LBB0_5
; %bb.4:
	v_add_nc_u32_e32 v54, 0x100, v94
	ds_write2st64_b64 v54, v[40:41], v[42:43] offset0:3 offset1:7
	ds_write2st64_b64 v54, v[44:45], v[46:47] offset0:11 offset1:15
	;; [unrolled: 1-line block ×3, first 2 shown]
	ds_write_b64 v94, v[52:53] offset:14080
.LBB0_5:
	s_or_b32 exec_lo, exec_lo, s0
	v_lshlrev_b32_e32 v40, 3, v93
	s_waitcnt lgkmcnt(0)
	s_barrier
	buffer_gl0_inv
	v_add_nc_u32_e32 v117, 0xe00, v94
	v_add_co_u32 v89, s0, s12, v40
	v_add_co_ci_u32_e64 v90, null, s13, 0, s0
	v_add_nc_u32_e32 v118, 0x1c00, v94
	v_add_co_u32 v40, s0, 0x3800, v89
	v_add_co_ci_u32_e64 v41, s0, 0, v90, s0
	v_add_co_u32 v54, s0, 0x4000, v89
	v_add_co_ci_u32_e64 v55, s0, 0, v90, s0
	global_load_dwordx2 v[58:59], v[40:41], off
	v_add_co_u32 v56, s0, 0x5000, v89
	v_add_co_ci_u32_e64 v57, s0, 0, v90, s0
	v_add_co_u32 v60, s0, 0x6000, v89
	v_add_co_ci_u32_e64 v61, s0, 0, v90, s0
	s_clause 0x2
	global_load_dwordx2 v[62:63], v[56:57], off offset:1024
	global_load_dwordx2 v[107:108], v[54:55], off offset:1536
	;; [unrolled: 1-line block ×3, first 2 shown]
	v_add_co_u32 v54, s0, 0x4800, v89
	v_add_co_ci_u32_e64 v55, s0, 0, v90, s0
	v_add_co_u32 v56, s0, 0x5800, v89
	v_add_co_ci_u32_e64 v57, s0, 0, v90, s0
	global_load_dwordx2 v[109:110], v[60:61], off offset:512
	v_add_co_u32 v60, s0, 0x6800, v89
	v_add_co_ci_u32_e64 v61, s0, 0, v90, s0
	s_clause 0x2
	global_load_dwordx2 v[111:112], v[54:55], off offset:1280
	global_load_dwordx2 v[113:114], v[56:57], off offset:768
	;; [unrolled: 1-line block ×3, first 2 shown]
	ds_read2_b64 v[54:57], v94 offset1:224
	v_add_nc_u32_e32 v119, 0x2a00, v94
	v_add_nc_u32_e32 v120, 0x700, v94
	;; [unrolled: 1-line block ×4, first 2 shown]
	s_waitcnt vmcnt(7) lgkmcnt(0)
	v_mul_f32_e32 v61, v55, v59
	v_mul_f32_e32 v60, v54, v59
	v_fma_f32 v59, v54, v58, -v61
	v_fmac_f32_e32 v60, v55, v58
	s_waitcnt vmcnt(4)
	v_mul_f32_e32 v54, v57, v41
	v_mul_f32_e32 v55, v56, v41
	ds_write_b64 v94, v[59:60]
	ds_read2_b64 v[58:61], v117 offset1:224
	ds_read2_b64 v[89:92], v118 offset1:224
	;; [unrolled: 1-line block ×3, first 2 shown]
	v_fma_f32 v54, v56, v40, -v54
	v_fmac_f32_e32 v55, v57, v40
	s_waitcnt lgkmcnt(2)
	v_mul_f32_e32 v40, v59, v108
	v_mul_f32_e32 v41, v58, v108
	s_waitcnt lgkmcnt(1)
	v_mul_f32_e32 v56, v90, v63
	v_mul_f32_e32 v57, v89, v63
	s_waitcnt vmcnt(2)
	v_mul_f32_e32 v124, v61, v112
	v_mul_f32_e32 v108, v60, v112
	s_waitcnt lgkmcnt(0)
	v_mul_f32_e32 v123, v104, v110
	v_mul_f32_e32 v63, v103, v110
	s_waitcnt vmcnt(1)
	v_mul_f32_e32 v125, v92, v114
	v_mul_f32_e32 v110, v91, v114
	s_waitcnt vmcnt(0)
	v_mul_f32_e32 v114, v106, v116
	v_mul_f32_e32 v112, v105, v116
	v_fma_f32 v40, v58, v107, -v40
	v_fmac_f32_e32 v41, v59, v107
	v_fma_f32 v56, v89, v62, -v56
	v_fmac_f32_e32 v57, v90, v62
	;; [unrolled: 2-line block ×6, first 2 shown]
	ds_write2_b64 v120, v[54:55], v[40:41] offset1:224
	ds_write2_b64 v121, v[107:108], v[56:57] offset1:224
	;; [unrolled: 1-line block ×3, first 2 shown]
	ds_write_b64 v94, v[111:112] offset:12544
	s_waitcnt lgkmcnt(0)
	s_barrier
	buffer_gl0_inv
	ds_read2_b64 v[54:57], v94 offset1:224
	ds_read2_b64 v[58:61], v118 offset1:224
	;; [unrolled: 1-line block ×4, first 2 shown]
	s_waitcnt lgkmcnt(0)
	s_barrier
	buffer_gl0_inv
	v_sub_f32_e32 v40, v54, v58
	v_sub_f32_e32 v41, v55, v59
	;; [unrolled: 1-line block ×8, first 2 shown]
	v_fma_f32 v54, v54, 2.0, -v40
	v_fma_f32 v55, v55, 2.0, -v41
	;; [unrolled: 1-line block ×8, first 2 shown]
	v_add_f32_e32 v58, v40, v58
	v_sub_f32_e32 v59, v41, v59
	v_sub_f32_e32 v56, v54, v89
	v_sub_f32_e32 v57, v55, v90
	v_add_f32_e32 v62, v103, v61
	v_sub_f32_e32 v63, v104, v60
	v_sub_f32_e32 v60, v107, v105
	;; [unrolled: 1-line block ×3, first 2 shown]
	v_fma_f32 v91, v40, 2.0, -v58
	v_fma_f32 v92, v41, 2.0, -v59
	v_fma_f32 v89, v54, 2.0, -v56
	v_fma_f32 v90, v55, 2.0, -v57
	v_fma_f32 v105, v103, 2.0, -v62
	v_fma_f32 v106, v104, 2.0, -v63
	v_fma_f32 v103, v107, 2.0, -v60
	v_fma_f32 v104, v108, 2.0, -v61
	ds_write_b128 v96, v[56:59] offset:16
	ds_write_b128 v96, v[89:92]
	ds_write_b128 v95, v[103:106]
	ds_write_b128 v95, v[60:63] offset:16
	s_waitcnt lgkmcnt(0)
	s_barrier
	buffer_gl0_inv
	ds_read2_b64 v[54:57], v117 offset1:224
	ds_read2_b64 v[58:61], v118 offset1:224
	;; [unrolled: 1-line block ×4, first 2 shown]
	s_waitcnt lgkmcnt(0)
	s_barrier
	buffer_gl0_inv
	v_mul_f32_e32 v40, v1, v55
	v_mul_f32_e32 v41, v1, v54
	;; [unrolled: 1-line block ×12, first 2 shown]
	v_fmac_f32_e32 v40, v0, v54
	v_fma_f32 v41, v0, v55, -v41
	v_fmac_f32_e32 v62, v2, v58
	v_fma_f32 v54, v2, v59, -v63
	;; [unrolled: 2-line block ×6, first 2 shown]
	v_sub_f32_e32 v57, v103, v62
	v_sub_f32_e32 v58, v104, v54
	;; [unrolled: 1-line block ×8, first 2 shown]
	v_fma_f32 v61, v103, 2.0, -v57
	v_fma_f32 v62, v104, 2.0, -v58
	v_fma_f32 v40, v40, 2.0, -v2
	v_fma_f32 v41, v41, 2.0, -v3
	v_add_f32_e32 v0, v57, v3
	v_fma_f32 v63, v105, 2.0, -v59
	v_fma_f32 v81, v106, 2.0, -v60
	;; [unrolled: 1-line block ×4, first 2 shown]
	v_sub_f32_e32 v1, v58, v2
	v_add_f32_e32 v2, v59, v55
	v_sub_f32_e32 v3, v60, v54
	v_sub_f32_e32 v40, v61, v40
	;; [unrolled: 1-line block ×3, first 2 shown]
	v_fma_f32 v54, v57, 2.0, -v0
	v_sub_f32_e32 v56, v63, v82
	v_sub_f32_e32 v57, v81, v89
	v_fma_f32 v55, v58, 2.0, -v1
	v_fma_f32 v58, v59, 2.0, -v2
	;; [unrolled: 1-line block ×7, first 2 shown]
	ds_write2_b64 v97, v[40:41], v[0:1] offset0:8 offset1:12
	ds_write2_b64 v97, v[60:61], v[54:55] offset1:4
	ds_write2_b64 v98, v[62:63], v[58:59] offset1:4
	ds_write2_b64 v98, v[56:57], v[2:3] offset0:8 offset1:12
	s_waitcnt lgkmcnt(0)
	s_barrier
	buffer_gl0_inv
	ds_read2_b64 v[0:3], v117 offset1:224
	ds_read2_b64 v[54:57], v118 offset1:224
	;; [unrolled: 1-line block ×4, first 2 shown]
	s_waitcnt lgkmcnt(0)
	s_barrier
	buffer_gl0_inv
	v_mul_f32_e32 v40, v5, v1
	v_mul_f32_e32 v41, v5, v0
	;; [unrolled: 1-line block ×12, first 2 shown]
	v_fmac_f32_e32 v40, v4, v0
	v_fma_f32 v0, v4, v1, -v41
	v_fmac_f32_e32 v62, v6, v54
	v_fma_f32 v1, v6, v55, -v63
	;; [unrolled: 2-line block ×6, first 2 shown]
	v_sub_f32_e32 v6, v89, v62
	v_sub_f32_e32 v7, v90, v1
	;; [unrolled: 1-line block ×8, first 2 shown]
	v_fma_f32 v56, v89, 2.0, -v6
	v_fma_f32 v57, v90, 2.0, -v7
	;; [unrolled: 1-line block ×8, first 2 shown]
	v_add_f32_e32 v0, v6, v5
	v_sub_f32_e32 v1, v7, v1
	v_add_f32_e32 v2, v54, v4
	v_sub_f32_e32 v4, v56, v40
	v_sub_f32_e32 v5, v57, v41
	;; [unrolled: 1-line block ×5, first 2 shown]
	v_fma_f32 v6, v6, 2.0, -v0
	v_fma_f32 v7, v7, 2.0, -v1
	;; [unrolled: 1-line block ×8, first 2 shown]
	ds_write2_b64 v100, v[4:5], v[0:1] offset0:32 offset1:48
	ds_write2_b64 v100, v[56:57], v[6:7] offset1:16
	ds_write2_b64 v99, v[58:59], v[54:55] offset1:16
	ds_write2_b64 v99, v[40:41], v[2:3] offset0:32 offset1:48
	s_waitcnt lgkmcnt(0)
	s_barrier
	buffer_gl0_inv
	ds_read2_b64 v[0:3], v117 offset1:224
	ds_read2_b64 v[4:7], v118 offset1:224
	ds_read2_b64 v[54:57], v119 offset1:224
	ds_read2_b64 v[58:61], v94 offset1:224
	s_waitcnt lgkmcnt(0)
	s_barrier
	buffer_gl0_inv
	v_mul_f32_e32 v40, v17, v1
	v_mul_f32_e32 v17, v17, v0
	;; [unrolled: 1-line block ×12, first 2 shown]
	v_fmac_f32_e32 v40, v16, v0
	v_fma_f32 v0, v16, v1, -v17
	v_fmac_f32_e32 v41, v18, v4
	v_fma_f32 v1, v18, v5, -v19
	;; [unrolled: 2-line block ×6, first 2 shown]
	v_sub_f32_e32 v6, v58, v41
	v_sub_f32_e32 v7, v59, v1
	;; [unrolled: 1-line block ×8, first 2 shown]
	v_fma_f32 v18, v58, 2.0, -v6
	v_fma_f32 v19, v59, 2.0, -v7
	;; [unrolled: 1-line block ×4, first 2 shown]
	v_add_f32_e32 v0, v6, v4
	v_sub_f32_e32 v1, v7, v1
	v_fma_f32 v22, v60, 2.0, -v16
	v_fma_f32 v23, v61, 2.0, -v17
	;; [unrolled: 1-line block ×4, first 2 shown]
	v_sub_f32_e32 v41, v17, v3
	v_sub_f32_e32 v2, v18, v20
	;; [unrolled: 1-line block ×3, first 2 shown]
	v_add_f32_e32 v40, v16, v5
	v_fma_f32 v4, v6, 2.0, -v0
	v_fma_f32 v5, v7, 2.0, -v1
	v_sub_f32_e32 v6, v22, v54
	v_sub_f32_e32 v7, v23, v55
	v_fma_f32 v18, v18, 2.0, -v2
	v_fma_f32 v19, v19, 2.0, -v3
	;; [unrolled: 1-line block ×6, first 2 shown]
	ds_write2st64_b64 v102, v[2:3], v[0:1] offset0:2 offset1:3
	ds_write2st64_b64 v102, v[18:19], v[4:5] offset1:1
	ds_write2st64_b64 v101, v[20:21], v[16:17] offset1:1
	ds_write2st64_b64 v101, v[6:7], v[40:41] offset0:2 offset1:3
	s_waitcnt lgkmcnt(0)
	s_barrier
	buffer_gl0_inv
	ds_read2st64_b64 v[0:3], v94 offset1:4
	ds_read2st64_b64 v[16:19], v94 offset0:8 offset1:12
	ds_read2st64_b64 v[4:7], v94 offset0:16 offset1:20
	ds_read_b64 v[20:21], v94 offset:12288
	s_and_saveexec_b32 s0, vcc_lo
	s_cbranch_execz .LBB0_7
; %bb.6:
	v_add_nc_u32_e32 v22, 0x100, v94
	ds_read2st64_b64 v[40:43], v22 offset0:3 offset1:7
	ds_read2st64_b64 v[44:47], v22 offset0:11 offset1:15
	;; [unrolled: 1-line block ×3, first 2 shown]
	ds_read_b64 v[52:53], v94 offset:14080
.LBB0_7:
	s_or_b32 exec_lo, exec_lo, s0
	s_waitcnt lgkmcnt(3)
	v_mul_f32_e32 v22, v29, v3
	v_mul_f32_e32 v23, v29, v2
	s_waitcnt lgkmcnt(2)
	v_mul_f32_e32 v29, v31, v17
	v_mul_f32_e32 v31, v31, v16
	v_fmac_f32_e32 v22, v28, v2
	v_fma_f32 v2, v28, v3, -v23
	v_mul_f32_e32 v3, v33, v19
	v_mul_f32_e32 v23, v33, v18
	s_waitcnt lgkmcnt(1)
	v_mul_f32_e32 v28, v35, v5
	v_fmac_f32_e32 v29, v30, v16
	v_fma_f32 v16, v30, v17, -v31
	v_fmac_f32_e32 v3, v32, v18
	v_fma_f32 v17, v32, v19, -v23
	v_fmac_f32_e32 v28, v34, v4
	s_waitcnt lgkmcnt(0)
	v_mul_f32_e32 v18, v39, v21
	v_mul_f32_e32 v19, v39, v20
	;; [unrolled: 1-line block ×5, first 2 shown]
	v_fmac_f32_e32 v18, v38, v20
	v_fma_f32 v19, v38, v21, -v19
	v_fma_f32 v4, v34, v5, -v4
	v_fmac_f32_e32 v23, v36, v6
	v_fma_f32 v5, v36, v7, -v30
	v_add_f32_e32 v6, v22, v18
	v_add_f32_e32 v7, v2, v19
	v_sub_f32_e32 v2, v2, v19
	v_add_f32_e32 v19, v29, v23
	v_add_f32_e32 v20, v16, v5
	v_sub_f32_e32 v18, v22, v18
	v_sub_f32_e32 v21, v29, v23
	;; [unrolled: 1-line block ×3, first 2 shown]
	v_add_f32_e32 v16, v3, v28
	v_add_f32_e32 v22, v17, v4
	v_sub_f32_e32 v3, v28, v3
	v_sub_f32_e32 v4, v4, v17
	v_add_f32_e32 v17, v19, v6
	v_add_f32_e32 v23, v20, v7
	v_sub_f32_e32 v28, v19, v6
	v_sub_f32_e32 v29, v20, v7
	;; [unrolled: 1-line block ×6, first 2 shown]
	v_add_f32_e32 v30, v3, v21
	v_add_f32_e32 v31, v4, v5
	v_sub_f32_e32 v32, v3, v21
	v_sub_f32_e32 v33, v4, v5
	v_add_f32_e32 v16, v16, v17
	v_add_f32_e32 v17, v22, v23
	v_sub_f32_e32 v21, v21, v18
	v_sub_f32_e32 v5, v5, v2
	;; [unrolled: 1-line block ×4, first 2 shown]
	v_add_f32_e32 v18, v30, v18
	v_add_f32_e32 v2, v31, v2
	v_add_f32_e32 v0, v0, v16
	v_add_f32_e32 v1, v1, v17
	v_mul_f32_e32 v6, 0x3f4a47b2, v6
	v_mul_f32_e32 v7, 0x3f4a47b2, v7
	;; [unrolled: 1-line block ×8, first 2 shown]
	v_fmamk_f32 v16, v16, 0xbf955555, v0
	v_fmamk_f32 v17, v17, 0xbf955555, v1
	;; [unrolled: 1-line block ×4, first 2 shown]
	v_fma_f32 v22, 0x3f3bfb3b, v28, -v22
	v_fma_f32 v23, 0x3f3bfb3b, v29, -v23
	;; [unrolled: 1-line block ×4, first 2 shown]
	v_fmamk_f32 v28, v3, 0xbeae86e6, v30
	v_fmamk_f32 v29, v4, 0xbeae86e6, v31
	v_fma_f32 v21, 0xbf5ff5aa, v21, -v30
	v_fma_f32 v30, 0xbf5ff5aa, v5, -v31
	v_fma_f32 v31, 0x3eae86e6, v3, -v32
	v_fma_f32 v32, 0x3eae86e6, v4, -v33
	v_add_f32_e32 v33, v19, v16
	v_add_f32_e32 v34, v20, v17
	v_fmac_f32_e32 v28, 0xbee1c552, v18
	v_fmac_f32_e32 v29, 0xbee1c552, v2
	v_add_f32_e32 v19, v22, v16
	v_add_f32_e32 v20, v23, v17
	;; [unrolled: 1-line block ×4, first 2 shown]
	v_fmac_f32_e32 v21, 0xbee1c552, v18
	v_fmac_f32_e32 v32, 0xbee1c552, v2
	;; [unrolled: 1-line block ×4, first 2 shown]
	v_add_f32_e32 v2, v29, v33
	v_sub_f32_e32 v3, v34, v28
	v_add_f32_e32 v4, v32, v22
	v_sub_f32_e32 v5, v23, v31
	v_sub_f32_e32 v6, v19, v30
	v_add_f32_e32 v7, v21, v20
	v_add_f32_e32 v16, v30, v19
	v_sub_f32_e32 v17, v20, v21
	v_sub_f32_e32 v18, v22, v32
	v_add_f32_e32 v19, v31, v23
	v_sub_f32_e32 v20, v33, v29
	v_add_f32_e32 v21, v28, v34
	ds_write2st64_b64 v94, v[0:1], v[2:3] offset1:4
	ds_write2st64_b64 v94, v[4:5], v[6:7] offset0:8 offset1:12
	ds_write2st64_b64 v94, v[16:17], v[18:19] offset0:16 offset1:20
	ds_write_b64 v94, v[20:21] offset:12288
	s_and_saveexec_b32 s0, vcc_lo
	s_cbranch_execz .LBB0_9
; %bb.8:
	v_mul_f32_e32 v0, v9, v43
	v_mul_f32_e32 v9, v9, v42
	;; [unrolled: 1-line block ×5, first 2 shown]
	v_fmac_f32_e32 v0, v8, v42
	v_mul_f32_e32 v20, v25, v50
	v_mul_f32_e32 v11, v11, v44
	v_fma_f32 v8, v8, v43, -v9
	v_mul_f32_e32 v9, v13, v46
	v_mul_f32_e32 v13, v15, v48
	;; [unrolled: 1-line block ×5, first 2 shown]
	v_fmac_f32_e32 v2, v12, v46
	v_fmac_f32_e32 v3, v10, v44
	v_fma_f32 v16, v26, v53, -v16
	v_fma_f32 v15, v24, v51, -v20
	;; [unrolled: 1-line block ×5, first 2 shown]
	v_fmac_f32_e32 v4, v24, v50
	v_fmac_f32_e32 v5, v26, v52
	v_add_f32_e32 v11, v16, v8
	v_add_f32_e32 v13, v15, v10
	;; [unrolled: 1-line block ×3, first 2 shown]
	v_fmac_f32_e32 v1, v14, v48
	v_sub_f32_e32 v7, v3, v4
	v_sub_f32_e32 v17, v0, v5
	v_add_f32_e32 v21, v13, v11
	v_sub_f32_e32 v22, v11, v20
	v_add_f32_e32 v5, v5, v0
	v_add_f32_e32 v4, v4, v3
	v_sub_f32_e32 v6, v1, v2
	v_add_f32_e32 v21, v20, v21
	v_sub_f32_e32 v0, v20, v13
	v_mul_f32_e32 v20, 0x3f4a47b2, v22
	v_add_f32_e32 v2, v2, v1
	v_add_f32_e32 v3, v4, v5
	;; [unrolled: 1-line block ×3, first 2 shown]
	v_mul_f32_e32 v22, 0x3d64c772, v0
	v_fmamk_f32 v23, v0, 0x3d64c772, v20
	v_sub_f32_e32 v0, v5, v2
	v_add_f32_e32 v3, v2, v3
	v_sub_f32_e32 v9, v12, v9
	v_sub_f32_e32 v10, v10, v15
	;; [unrolled: 1-line block ×4, first 2 shown]
	v_fmamk_f32 v21, v21, 0xbf955555, v1
	v_mul_f32_e32 v12, 0x3f4a47b2, v0
	v_sub_f32_e32 v2, v2, v4
	v_add_f32_e32 v0, v40, v3
	v_sub_f32_e32 v15, v9, v10
	v_sub_f32_e32 v19, v17, v6
	v_add_f32_e32 v6, v6, v7
	v_sub_f32_e32 v25, v8, v9
	;; [unrolled: 3-line block ×3, first 2 shown]
	v_sub_f32_e32 v4, v4, v5
	v_sub_f32_e32 v5, v10, v8
	v_mul_f32_e32 v18, 0x3f08b237, v18
	v_add_f32_e32 v16, v23, v21
	v_fmamk_f32 v23, v2, 0x3d64c772, v12
	v_fmamk_f32 v24, v3, 0xbf955555, v0
	v_mul_f32_e32 v15, 0x3f08b237, v15
	v_mul_f32_e32 v2, 0x3d64c772, v2
	;; [unrolled: 1-line block ×3, first 2 shown]
	v_add_f32_e32 v8, v9, v8
	v_fma_f32 v9, 0xbf3bfb3b, v11, -v20
	v_mul_f32_e32 v13, 0xbf5ff5aa, v5
	v_fmamk_f32 v14, v19, 0xbeae86e6, v18
	v_add_f32_e32 v6, v6, v17
	v_add_f32_e32 v17, v23, v24
	v_fmamk_f32 v23, v25, 0xbeae86e6, v15
	v_fma_f32 v10, 0x3eae86e6, v19, -v26
	v_fma_f32 v12, 0xbf3bfb3b, v4, -v12
	v_add_f32_e32 v19, v9, v21
	v_fma_f32 v25, 0x3eae86e6, v25, -v13
	v_fma_f32 v9, 0x3f3bfb3b, v11, -v22
	;; [unrolled: 1-line block ×5, first 2 shown]
	v_fmac_f32_e32 v14, 0xbee1c552, v6
	v_fmac_f32_e32 v23, 0xbee1c552, v8
	;; [unrolled: 1-line block ×3, first 2 shown]
	v_add_f32_e32 v20, v12, v24
	v_fmac_f32_e32 v25, 0xbee1c552, v8
	v_add_f32_e32 v9, v9, v21
	v_fmac_f32_e32 v11, 0xbee1c552, v6
	v_fmac_f32_e32 v15, 0xbee1c552, v8
	v_add_f32_e32 v2, v2, v24
	v_add_f32_e32 v3, v14, v16
	v_sub_f32_e32 v13, v16, v14
	v_add_f32_e32 v12, v23, v17
	v_add_nc_u32_e32 v14, 0x100, v94
	v_add_f32_e32 v5, v10, v19
	v_sub_f32_e32 v7, v9, v11
	v_add_f32_e32 v9, v11, v9
	v_sub_f32_e32 v8, v2, v15
	v_sub_f32_e32 v11, v19, v10
	v_add_f32_e32 v10, v25, v20
	v_sub_f32_e32 v4, v20, v25
	v_add_f32_e32 v6, v15, v2
	v_sub_f32_e32 v2, v17, v23
	ds_write2st64_b64 v14, v[0:1], v[12:13] offset0:3 offset1:7
	ds_write2st64_b64 v14, v[10:11], v[8:9] offset0:11 offset1:15
	;; [unrolled: 1-line block ×3, first 2 shown]
	ds_write_b64 v94, v[2:3] offset:14080
.LBB0_9:
	s_or_b32 exec_lo, exec_lo, s0
	s_waitcnt lgkmcnt(0)
	s_barrier
	buffer_gl0_inv
	ds_read2_b64 v[0:3], v94 offset1:224
	v_mad_u64_u32 v[16:17], null, s10, v64, 0
	v_mad_u64_u32 v[18:19], null, s8, v93, 0
	v_add_nc_u32_e32 v4, 0xe00, v94
	v_add_nc_u32_e32 v8, 0x1c00, v94
	;; [unrolled: 1-line block ×3, first 2 shown]
	ds_read2_b64 v[4:7], v4 offset1:224
	ds_read2_b64 v[8:11], v8 offset1:224
	ds_read2_b64 v[12:15], v12 offset1:224
	v_mad_u64_u32 v[20:21], null, s11, v64, v[17:18]
	s_mov_b32 s0, 0x92492492
	s_mov_b32 s1, 0x3f424924
	v_mad_u64_u32 v[21:22], null, s9, v93, v[19:20]
	s_waitcnt lgkmcnt(3)
	v_mul_f32_e32 v23, v66, v1
	v_mul_f32_e32 v24, v66, v0
	;; [unrolled: 1-line block ×3, first 2 shown]
	v_fmac_f32_e32 v23, v65, v0
	v_fma_f32 v17, v65, v1, -v24
	v_mov_b32_e32 v19, v21
	s_waitcnt lgkmcnt(2)
	v_mul_f32_e32 v21, v80, v4
	s_waitcnt lgkmcnt(1)
	v_mul_f32_e32 v26, v78, v9
	v_cvt_f64_f32_e32 v[0:1], v23
	v_cvt_f64_f32_e32 v[22:23], v17
	v_mov_b32_e32 v17, v20
	v_mul_f32_e32 v20, v80, v5
	v_mul_f32_e32 v27, v78, v8
	v_fma_f32 v21, v79, v5, -v21
	v_fmac_f32_e32 v26, v77, v8
	v_mul_f32_e32 v24, v68, v3
	v_fmac_f32_e32 v20, v79, v4
	v_fma_f32 v27, v77, v9, -v27
	v_cvt_f64_f32_e32 v[8:9], v21
	v_fma_f32 v25, v67, v3, -v25
	v_fmac_f32_e32 v24, v67, v2
	v_cvt_f64_f32_e32 v[4:5], v20
	v_lshlrev_b64 v[2:3], 3, v[16:17]
	v_cvt_f64_f32_e32 v[16:17], v26
	v_cvt_f64_f32_e32 v[20:21], v27
	s_waitcnt lgkmcnt(0)
	v_mul_f32_e32 v28, v76, v13
	v_mul_f32_e32 v29, v76, v12
	;; [unrolled: 1-line block ×3, first 2 shown]
	v_lshlrev_b64 v[18:19], 3, v[18:19]
	v_mul_f64 v[0:1], v[0:1], s[0:1]
	v_mul_f64 v[22:23], v[22:23], s[0:1]
	v_fmac_f32_e32 v28, v75, v12
	v_fma_f32 v26, v75, v13, -v29
	v_add_co_u32 v29, vcc_lo, s2, v2
	v_fmac_f32_e32 v30, v69, v6
	v_add_co_ci_u32_e32 v31, vcc_lo, s3, v3, vcc_lo
	v_cvt_f64_f32_e32 v[2:3], v28
	v_cvt_f64_f32_e32 v[26:27], v26
	v_mul_f64 v[8:9], v[8:9], s[0:1]
	v_add_co_u32 v18, vcc_lo, v29, v18
	v_mul_f64 v[4:5], v[4:5], s[0:1]
	v_mul_f32_e32 v6, v70, v6
	v_mul_f32_e32 v28, v72, v11
	;; [unrolled: 1-line block ×3, first 2 shown]
	v_add_co_ci_u32_e32 v19, vcc_lo, v31, v19, vcc_lo
	v_mul_f32_e32 v31, v74, v14
	v_fma_f32 v6, v69, v7, -v6
	v_cvt_f32_f64_e32 v0, v[0:1]
	v_cvt_f32_f64_e32 v1, v[22:23]
	v_cvt_f64_f32_e32 v[22:23], v30
	v_mul_f32_e32 v30, v74, v15
	v_cvt_f64_f32_e32 v[12:13], v24
	v_cvt_f64_f32_e32 v[24:25], v25
	v_fmac_f32_e32 v28, v71, v10
	v_fma_f32 v29, v71, v11, -v29
	v_fmac_f32_e32 v30, v73, v14
	v_fma_f32 v31, v73, v15, -v31
	v_mul_f64 v[16:17], v[16:17], s[0:1]
	v_mul_f64 v[20:21], v[20:21], s[0:1]
	v_cvt_f64_f32_e32 v[6:7], v6
	v_cvt_f64_f32_e32 v[10:11], v28
	;; [unrolled: 1-line block ×5, first 2 shown]
	v_cvt_f32_f64_e32 v4, v[4:5]
	v_cvt_f32_f64_e32 v5, v[8:9]
	v_mul_f64 v[2:3], v[2:3], s[0:1]
	v_mul_f64 v[8:9], v[26:27], s[0:1]
	s_mul_i32 s2, s9, 0xe00
	s_mul_hi_u32 s3, s8, 0xe00
	global_store_dwordx2 v[18:19], v[0:1], off
	s_add_i32 s3, s3, s2
	s_mul_i32 s2, s8, 0xe00
	v_mul_f64 v[12:13], v[12:13], s[0:1]
	v_mul_f64 v[24:25], v[24:25], s[0:1]
	v_add_co_u32 v26, vcc_lo, v18, s2
	v_add_co_ci_u32_e32 v27, vcc_lo, s3, v19, vcc_lo
	v_cvt_f32_f64_e32 v16, v[16:17]
	v_cvt_f32_f64_e32 v17, v[20:21]
	v_mul_f64 v[20:21], v[22:23], s[0:1]
	v_mul_f64 v[6:7], v[6:7], s[0:1]
	;; [unrolled: 1-line block ×6, first 2 shown]
	v_add_co_u32 v30, vcc_lo, v26, s2
	v_add_co_ci_u32_e32 v31, vcc_lo, s3, v27, vcc_lo
	v_cvt_f32_f64_e32 v2, v[2:3]
	v_cvt_f32_f64_e32 v3, v[8:9]
	v_add_co_u32 v8, vcc_lo, v30, s2
	v_add_co_ci_u32_e32 v9, vcc_lo, s3, v31, vcc_lo
	v_cvt_f32_f64_e32 v12, v[12:13]
	v_cvt_f32_f64_e32 v13, v[24:25]
	s_mul_i32 s0, s9, 0xffffdd00
	v_mad_u64_u32 v[24:25], null, 0xffffdd00, s8, v[8:9]
	s_sub_i32 s0, s0, s8
	v_cvt_f32_f64_e32 v20, v[20:21]
	v_cvt_f32_f64_e32 v21, v[6:7]
	;; [unrolled: 1-line block ×6, first 2 shown]
	v_add_nc_u32_e32 v25, s0, v25
	v_add_co_u32 v0, vcc_lo, v24, s2
	global_store_dwordx2 v[26:27], v[4:5], off
	global_store_dwordx2 v[30:31], v[16:17], off
	v_add_co_ci_u32_e32 v1, vcc_lo, s3, v25, vcc_lo
	v_add_co_u32 v4, vcc_lo, v0, s2
	v_add_co_ci_u32_e32 v5, vcc_lo, s3, v1, vcc_lo
	v_add_co_u32 v14, vcc_lo, v4, s2
	v_add_co_ci_u32_e32 v15, vcc_lo, s3, v5, vcc_lo
	global_store_dwordx2 v[8:9], v[2:3], off
	global_store_dwordx2 v[24:25], v[12:13], off
	;; [unrolled: 1-line block ×5, first 2 shown]
.LBB0_10:
	s_endpgm
	.section	.rodata,"a",@progbits
	.p2align	6, 0x0
	.amdhsa_kernel bluestein_single_back_len1792_dim1_sp_op_CI_CI
		.amdhsa_group_segment_fixed_size 14336
		.amdhsa_private_segment_fixed_size 0
		.amdhsa_kernarg_size 104
		.amdhsa_user_sgpr_count 6
		.amdhsa_user_sgpr_private_segment_buffer 1
		.amdhsa_user_sgpr_dispatch_ptr 0
		.amdhsa_user_sgpr_queue_ptr 0
		.amdhsa_user_sgpr_kernarg_segment_ptr 1
		.amdhsa_user_sgpr_dispatch_id 0
		.amdhsa_user_sgpr_flat_scratch_init 0
		.amdhsa_user_sgpr_private_segment_size 0
		.amdhsa_wavefront_size32 1
		.amdhsa_uses_dynamic_stack 0
		.amdhsa_system_sgpr_private_segment_wavefront_offset 0
		.amdhsa_system_sgpr_workgroup_id_x 1
		.amdhsa_system_sgpr_workgroup_id_y 0
		.amdhsa_system_sgpr_workgroup_id_z 0
		.amdhsa_system_sgpr_workgroup_info 0
		.amdhsa_system_vgpr_workitem_id 0
		.amdhsa_next_free_vgpr 126
		.amdhsa_next_free_sgpr 20
		.amdhsa_reserve_vcc 1
		.amdhsa_reserve_flat_scratch 0
		.amdhsa_float_round_mode_32 0
		.amdhsa_float_round_mode_16_64 0
		.amdhsa_float_denorm_mode_32 3
		.amdhsa_float_denorm_mode_16_64 3
		.amdhsa_dx10_clamp 1
		.amdhsa_ieee_mode 1
		.amdhsa_fp16_overflow 0
		.amdhsa_workgroup_processor_mode 1
		.amdhsa_memory_ordered 1
		.amdhsa_forward_progress 0
		.amdhsa_shared_vgpr_count 0
		.amdhsa_exception_fp_ieee_invalid_op 0
		.amdhsa_exception_fp_denorm_src 0
		.amdhsa_exception_fp_ieee_div_zero 0
		.amdhsa_exception_fp_ieee_overflow 0
		.amdhsa_exception_fp_ieee_underflow 0
		.amdhsa_exception_fp_ieee_inexact 0
		.amdhsa_exception_int_div_zero 0
	.end_amdhsa_kernel
	.text
.Lfunc_end0:
	.size	bluestein_single_back_len1792_dim1_sp_op_CI_CI, .Lfunc_end0-bluestein_single_back_len1792_dim1_sp_op_CI_CI
                                        ; -- End function
	.section	.AMDGPU.csdata,"",@progbits
; Kernel info:
; codeLenInByte = 8372
; NumSgprs: 22
; NumVgprs: 126
; ScratchSize: 0
; MemoryBound: 0
; FloatMode: 240
; IeeeMode: 1
; LDSByteSize: 14336 bytes/workgroup (compile time only)
; SGPRBlocks: 2
; VGPRBlocks: 15
; NumSGPRsForWavesPerEU: 22
; NumVGPRsForWavesPerEU: 126
; Occupancy: 8
; WaveLimiterHint : 1
; COMPUTE_PGM_RSRC2:SCRATCH_EN: 0
; COMPUTE_PGM_RSRC2:USER_SGPR: 6
; COMPUTE_PGM_RSRC2:TRAP_HANDLER: 0
; COMPUTE_PGM_RSRC2:TGID_X_EN: 1
; COMPUTE_PGM_RSRC2:TGID_Y_EN: 0
; COMPUTE_PGM_RSRC2:TGID_Z_EN: 0
; COMPUTE_PGM_RSRC2:TIDIG_COMP_CNT: 0
	.text
	.p2alignl 6, 3214868480
	.fill 48, 4, 3214868480
	.type	__hip_cuid_5473c5abf3422d20,@object ; @__hip_cuid_5473c5abf3422d20
	.section	.bss,"aw",@nobits
	.globl	__hip_cuid_5473c5abf3422d20
__hip_cuid_5473c5abf3422d20:
	.byte	0                               ; 0x0
	.size	__hip_cuid_5473c5abf3422d20, 1

	.ident	"AMD clang version 19.0.0git (https://github.com/RadeonOpenCompute/llvm-project roc-6.4.0 25133 c7fe45cf4b819c5991fe208aaa96edf142730f1d)"
	.section	".note.GNU-stack","",@progbits
	.addrsig
	.addrsig_sym __hip_cuid_5473c5abf3422d20
	.amdgpu_metadata
---
amdhsa.kernels:
  - .args:
      - .actual_access:  read_only
        .address_space:  global
        .offset:         0
        .size:           8
        .value_kind:     global_buffer
      - .actual_access:  read_only
        .address_space:  global
        .offset:         8
        .size:           8
        .value_kind:     global_buffer
      - .actual_access:  read_only
        .address_space:  global
        .offset:         16
        .size:           8
        .value_kind:     global_buffer
      - .actual_access:  read_only
        .address_space:  global
        .offset:         24
        .size:           8
        .value_kind:     global_buffer
      - .actual_access:  read_only
        .address_space:  global
        .offset:         32
        .size:           8
        .value_kind:     global_buffer
      - .offset:         40
        .size:           8
        .value_kind:     by_value
      - .address_space:  global
        .offset:         48
        .size:           8
        .value_kind:     global_buffer
      - .address_space:  global
        .offset:         56
        .size:           8
        .value_kind:     global_buffer
      - .address_space:  global
        .offset:         64
        .size:           8
        .value_kind:     global_buffer
      - .address_space:  global
        .offset:         72
        .size:           8
        .value_kind:     global_buffer
      - .offset:         80
        .size:           4
        .value_kind:     by_value
      - .address_space:  global
        .offset:         88
        .size:           8
        .value_kind:     global_buffer
      - .address_space:  global
        .offset:         96
        .size:           8
        .value_kind:     global_buffer
    .group_segment_fixed_size: 14336
    .kernarg_segment_align: 8
    .kernarg_segment_size: 104
    .language:       OpenCL C
    .language_version:
      - 2
      - 0
    .max_flat_workgroup_size: 224
    .name:           bluestein_single_back_len1792_dim1_sp_op_CI_CI
    .private_segment_fixed_size: 0
    .sgpr_count:     22
    .sgpr_spill_count: 0
    .symbol:         bluestein_single_back_len1792_dim1_sp_op_CI_CI.kd
    .uniform_work_group_size: 1
    .uses_dynamic_stack: false
    .vgpr_count:     126
    .vgpr_spill_count: 0
    .wavefront_size: 32
    .workgroup_processor_mode: 1
amdhsa.target:   amdgcn-amd-amdhsa--gfx1030
amdhsa.version:
  - 1
  - 2
...

	.end_amdgpu_metadata
